;; amdgpu-corpus repo=ROCm/rocFFT kind=compiled arch=gfx1030 opt=O3
	.text
	.amdgcn_target "amdgcn-amd-amdhsa--gfx1030"
	.amdhsa_code_object_version 6
	.protected	fft_rtc_back_len1950_factors_13_5_10_3_wgs_195_tpt_195_half_op_CI_CI_unitstride_sbrr_C2R_dirReg ; -- Begin function fft_rtc_back_len1950_factors_13_5_10_3_wgs_195_tpt_195_half_op_CI_CI_unitstride_sbrr_C2R_dirReg
	.globl	fft_rtc_back_len1950_factors_13_5_10_3_wgs_195_tpt_195_half_op_CI_CI_unitstride_sbrr_C2R_dirReg
	.p2align	8
	.type	fft_rtc_back_len1950_factors_13_5_10_3_wgs_195_tpt_195_half_op_CI_CI_unitstride_sbrr_C2R_dirReg,@function
fft_rtc_back_len1950_factors_13_5_10_3_wgs_195_tpt_195_half_op_CI_CI_unitstride_sbrr_C2R_dirReg: ; @fft_rtc_back_len1950_factors_13_5_10_3_wgs_195_tpt_195_half_op_CI_CI_unitstride_sbrr_C2R_dirReg
; %bb.0:
	s_clause 0x2
	s_load_dwordx4 s[12:15], s[4:5], 0x0
	s_load_dwordx4 s[8:11], s[4:5], 0x58
	;; [unrolled: 1-line block ×3, first 2 shown]
	v_mul_u32_u24_e32 v1, 0x151, v0
	v_mov_b32_e32 v8, 0
	v_mov_b32_e32 v6, 0
	;; [unrolled: 1-line block ×3, first 2 shown]
	v_add_nc_u32_sdwa v10, s6, v1 dst_sel:DWORD dst_unused:UNUSED_PAD src0_sel:DWORD src1_sel:WORD_1
	v_mov_b32_e32 v11, v8
	s_waitcnt lgkmcnt(0)
	v_cmp_lt_u64_e64 s0, s[14:15], 2
	s_and_b32 vcc_lo, exec_lo, s0
	s_cbranch_vccnz .LBB0_8
; %bb.1:
	s_load_dwordx2 s[0:1], s[4:5], 0x10
	v_mov_b32_e32 v6, 0
	v_mov_b32_e32 v7, 0
	s_add_u32 s2, s18, 8
	s_addc_u32 s3, s19, 0
	v_mov_b32_e32 v1, v6
	s_add_u32 s6, s16, 8
	v_mov_b32_e32 v2, v7
	s_addc_u32 s7, s17, 0
	s_mov_b64 s[22:23], 1
	s_waitcnt lgkmcnt(0)
	s_add_u32 s20, s0, 8
	s_addc_u32 s21, s1, 0
.LBB0_2:                                ; =>This Inner Loop Header: Depth=1
	s_load_dwordx2 s[24:25], s[20:21], 0x0
                                        ; implicit-def: $vgpr3_vgpr4
	s_mov_b32 s0, exec_lo
	s_waitcnt lgkmcnt(0)
	v_or_b32_e32 v9, s25, v11
	v_cmpx_ne_u64_e32 0, v[8:9]
	s_xor_b32 s1, exec_lo, s0
	s_cbranch_execz .LBB0_4
; %bb.3:                                ;   in Loop: Header=BB0_2 Depth=1
	v_cvt_f32_u32_e32 v3, s24
	v_cvt_f32_u32_e32 v4, s25
	s_sub_u32 s0, 0, s24
	s_subb_u32 s26, 0, s25
	v_fmac_f32_e32 v3, 0x4f800000, v4
	v_rcp_f32_e32 v3, v3
	v_mul_f32_e32 v3, 0x5f7ffffc, v3
	v_mul_f32_e32 v4, 0x2f800000, v3
	v_trunc_f32_e32 v4, v4
	v_fmac_f32_e32 v3, 0xcf800000, v4
	v_cvt_u32_f32_e32 v4, v4
	v_cvt_u32_f32_e32 v3, v3
	v_mul_lo_u32 v5, s0, v4
	v_mul_hi_u32 v9, s0, v3
	v_mul_lo_u32 v12, s26, v3
	v_add_nc_u32_e32 v5, v9, v5
	v_mul_lo_u32 v9, s0, v3
	v_add_nc_u32_e32 v5, v5, v12
	v_mul_hi_u32 v12, v3, v9
	v_mul_lo_u32 v13, v3, v5
	v_mul_hi_u32 v14, v3, v5
	v_mul_hi_u32 v15, v4, v9
	v_mul_lo_u32 v9, v4, v9
	v_mul_hi_u32 v16, v4, v5
	v_mul_lo_u32 v5, v4, v5
	v_add_co_u32 v12, vcc_lo, v12, v13
	v_add_co_ci_u32_e32 v13, vcc_lo, 0, v14, vcc_lo
	v_add_co_u32 v9, vcc_lo, v12, v9
	v_add_co_ci_u32_e32 v9, vcc_lo, v13, v15, vcc_lo
	v_add_co_ci_u32_e32 v12, vcc_lo, 0, v16, vcc_lo
	v_add_co_u32 v5, vcc_lo, v9, v5
	v_add_co_ci_u32_e32 v9, vcc_lo, 0, v12, vcc_lo
	v_add_co_u32 v3, vcc_lo, v3, v5
	v_add_co_ci_u32_e32 v4, vcc_lo, v4, v9, vcc_lo
	v_mul_hi_u32 v5, s0, v3
	v_mul_lo_u32 v12, s26, v3
	v_mul_lo_u32 v9, s0, v4
	v_add_nc_u32_e32 v5, v5, v9
	v_mul_lo_u32 v9, s0, v3
	v_add_nc_u32_e32 v5, v5, v12
	v_mul_hi_u32 v12, v3, v9
	v_mul_lo_u32 v13, v3, v5
	v_mul_hi_u32 v14, v3, v5
	v_mul_hi_u32 v15, v4, v9
	v_mul_lo_u32 v9, v4, v9
	v_mul_hi_u32 v16, v4, v5
	v_mul_lo_u32 v5, v4, v5
	v_add_co_u32 v12, vcc_lo, v12, v13
	v_add_co_ci_u32_e32 v13, vcc_lo, 0, v14, vcc_lo
	v_add_co_u32 v9, vcc_lo, v12, v9
	v_add_co_ci_u32_e32 v9, vcc_lo, v13, v15, vcc_lo
	v_add_co_ci_u32_e32 v12, vcc_lo, 0, v16, vcc_lo
	v_add_co_u32 v5, vcc_lo, v9, v5
	v_add_co_ci_u32_e32 v9, vcc_lo, 0, v12, vcc_lo
	v_add_co_u32 v5, vcc_lo, v3, v5
	v_add_co_ci_u32_e32 v9, vcc_lo, v4, v9, vcc_lo
	v_mul_hi_u32 v16, v10, v5
	v_mad_u64_u32 v[12:13], null, v11, v5, 0
	v_mad_u64_u32 v[3:4], null, v10, v9, 0
	;; [unrolled: 1-line block ×3, first 2 shown]
	v_add_co_u32 v3, vcc_lo, v16, v3
	v_add_co_ci_u32_e32 v4, vcc_lo, 0, v4, vcc_lo
	v_add_co_u32 v3, vcc_lo, v3, v12
	v_add_co_ci_u32_e32 v3, vcc_lo, v4, v13, vcc_lo
	v_add_co_ci_u32_e32 v4, vcc_lo, 0, v15, vcc_lo
	v_add_co_u32 v5, vcc_lo, v3, v14
	v_add_co_ci_u32_e32 v9, vcc_lo, 0, v4, vcc_lo
	v_mul_lo_u32 v12, s25, v5
	v_mad_u64_u32 v[3:4], null, s24, v5, 0
	v_mul_lo_u32 v13, s24, v9
	v_sub_co_u32 v3, vcc_lo, v10, v3
	v_add3_u32 v4, v4, v13, v12
	v_sub_nc_u32_e32 v12, v11, v4
	v_subrev_co_ci_u32_e64 v12, s0, s25, v12, vcc_lo
	v_add_co_u32 v13, s0, v5, 2
	v_add_co_ci_u32_e64 v14, s0, 0, v9, s0
	v_sub_co_u32 v15, s0, v3, s24
	v_sub_co_ci_u32_e32 v4, vcc_lo, v11, v4, vcc_lo
	v_subrev_co_ci_u32_e64 v12, s0, 0, v12, s0
	v_cmp_le_u32_e32 vcc_lo, s24, v15
	v_cmp_eq_u32_e64 s0, s25, v4
	v_cndmask_b32_e64 v15, 0, -1, vcc_lo
	v_cmp_le_u32_e32 vcc_lo, s25, v12
	v_cndmask_b32_e64 v16, 0, -1, vcc_lo
	v_cmp_le_u32_e32 vcc_lo, s24, v3
	;; [unrolled: 2-line block ×3, first 2 shown]
	v_cndmask_b32_e64 v17, 0, -1, vcc_lo
	v_cmp_eq_u32_e32 vcc_lo, s25, v12
	v_cndmask_b32_e64 v3, v17, v3, s0
	v_cndmask_b32_e32 v12, v16, v15, vcc_lo
	v_add_co_u32 v15, vcc_lo, v5, 1
	v_add_co_ci_u32_e32 v16, vcc_lo, 0, v9, vcc_lo
	v_cmp_ne_u32_e32 vcc_lo, 0, v12
	v_cndmask_b32_e32 v4, v16, v14, vcc_lo
	v_cndmask_b32_e32 v12, v15, v13, vcc_lo
	v_cmp_ne_u32_e32 vcc_lo, 0, v3
	v_cndmask_b32_e32 v4, v9, v4, vcc_lo
	v_cndmask_b32_e32 v3, v5, v12, vcc_lo
.LBB0_4:                                ;   in Loop: Header=BB0_2 Depth=1
	s_andn2_saveexec_b32 s0, s1
	s_cbranch_execz .LBB0_6
; %bb.5:                                ;   in Loop: Header=BB0_2 Depth=1
	v_cvt_f32_u32_e32 v3, s24
	s_sub_i32 s1, 0, s24
	v_rcp_iflag_f32_e32 v3, v3
	v_mul_f32_e32 v3, 0x4f7ffffe, v3
	v_cvt_u32_f32_e32 v3, v3
	v_mul_lo_u32 v4, s1, v3
	v_mul_hi_u32 v4, v3, v4
	v_add_nc_u32_e32 v3, v3, v4
	v_mul_hi_u32 v3, v10, v3
	v_mul_lo_u32 v4, v3, s24
	v_add_nc_u32_e32 v5, 1, v3
	v_sub_nc_u32_e32 v4, v10, v4
	v_subrev_nc_u32_e32 v9, s24, v4
	v_cmp_le_u32_e32 vcc_lo, s24, v4
	v_cndmask_b32_e32 v4, v4, v9, vcc_lo
	v_cndmask_b32_e32 v3, v3, v5, vcc_lo
	v_cmp_le_u32_e32 vcc_lo, s24, v4
	v_add_nc_u32_e32 v5, 1, v3
	v_mov_b32_e32 v4, v8
	v_cndmask_b32_e32 v3, v3, v5, vcc_lo
.LBB0_6:                                ;   in Loop: Header=BB0_2 Depth=1
	s_or_b32 exec_lo, exec_lo, s0
	v_mul_lo_u32 v5, v4, s24
	v_mul_lo_u32 v9, v3, s25
	s_load_dwordx2 s[0:1], s[6:7], 0x0
	v_mad_u64_u32 v[12:13], null, v3, s24, 0
	s_load_dwordx2 s[24:25], s[2:3], 0x0
	s_add_u32 s22, s22, 1
	s_addc_u32 s23, s23, 0
	s_add_u32 s2, s2, 8
	s_addc_u32 s3, s3, 0
	s_add_u32 s6, s6, 8
	v_add3_u32 v5, v13, v9, v5
	v_sub_co_u32 v9, vcc_lo, v10, v12
	s_addc_u32 s7, s7, 0
	s_add_u32 s20, s20, 8
	v_sub_co_ci_u32_e32 v5, vcc_lo, v11, v5, vcc_lo
	s_addc_u32 s21, s21, 0
	s_waitcnt lgkmcnt(0)
	v_mul_lo_u32 v10, s0, v5
	v_mul_lo_u32 v11, s1, v9
	v_mad_u64_u32 v[6:7], null, s0, v9, v[6:7]
	v_mul_lo_u32 v5, s24, v5
	v_mul_lo_u32 v12, s25, v9
	v_mad_u64_u32 v[1:2], null, s24, v9, v[1:2]
	v_cmp_ge_u64_e64 s0, s[22:23], s[14:15]
	v_add3_u32 v7, v11, v7, v10
	v_add3_u32 v2, v12, v2, v5
	s_and_b32 vcc_lo, exec_lo, s0
	s_cbranch_vccnz .LBB0_9
; %bb.7:                                ;   in Loop: Header=BB0_2 Depth=1
	v_mov_b32_e32 v11, v4
	v_mov_b32_e32 v10, v3
	s_branch .LBB0_2
.LBB0_8:
	v_mov_b32_e32 v1, v6
	v_mov_b32_e32 v3, v10
	;; [unrolled: 1-line block ×4, first 2 shown]
.LBB0_9:
	s_load_dwordx2 s[0:1], s[4:5], 0x28
	v_mul_hi_u32 v8, 0x1501502, v0
	s_lshl_b64 s[4:5], s[14:15], 3
                                        ; implicit-def: $vgpr5
	s_add_u32 s2, s18, s4
	s_addc_u32 s3, s19, s5
	s_waitcnt lgkmcnt(0)
	v_cmp_gt_u64_e32 vcc_lo, s[0:1], v[3:4]
	v_cmp_le_u64_e64 s0, s[0:1], v[3:4]
	s_and_saveexec_b32 s1, s0
	s_xor_b32 s0, exec_lo, s1
; %bb.10:
	v_mul_u32_u24_e32 v5, 0xc3, v8
                                        ; implicit-def: $vgpr8
                                        ; implicit-def: $vgpr6_vgpr7
	v_sub_nc_u32_e32 v5, v0, v5
                                        ; implicit-def: $vgpr0
; %bb.11:
	s_or_saveexec_b32 s1, s0
	s_load_dwordx2 s[2:3], s[2:3], 0x0
	s_xor_b32 exec_lo, exec_lo, s1
	s_cbranch_execz .LBB0_15
; %bb.12:
	s_add_u32 s4, s16, s4
	s_addc_u32 s5, s17, s5
	v_lshlrev_b64 v[6:7], 2, v[6:7]
	s_load_dwordx2 s[4:5], s[4:5], 0x0
	s_waitcnt lgkmcnt(0)
	v_mul_lo_u32 v5, s5, v3
	v_mul_lo_u32 v11, s4, v4
	v_mad_u64_u32 v[9:10], null, s4, v3, 0
	s_mov_b32 s4, exec_lo
	v_add3_u32 v10, v10, v11, v5
	v_mul_u32_u24_e32 v5, 0xc3, v8
	v_lshlrev_b64 v[8:9], 2, v[9:10]
	v_sub_nc_u32_e32 v5, v0, v5
	v_lshlrev_b32_e32 v15, 2, v5
	v_add_co_u32 v0, s0, s8, v8
	v_add_co_ci_u32_e64 v8, s0, s9, v9, s0
	v_add_co_u32 v0, s0, v0, v6
	v_add_co_ci_u32_e64 v6, s0, v8, v7, s0
	;; [unrolled: 2-line block ×6, first 2 shown]
	s_clause 0x9
	global_load_dword v16, v[7:8], off
	global_load_dword v17, v[7:8], off offset:780
	global_load_dword v7, v[7:8], off offset:1560
	;; [unrolled: 1-line block ×9, first 2 shown]
	v_add_nc_u32_e32 v14, 0, v15
	v_add_nc_u32_e32 v15, 0x600, v14
	;; [unrolled: 1-line block ×5, first 2 shown]
	s_waitcnt vmcnt(8)
	ds_write2_b32 v14, v16, v17 offset1:195
	s_waitcnt vmcnt(6)
	ds_write2_b32 v15, v7, v8 offset0:6 offset1:201
	s_waitcnt vmcnt(4)
	ds_write2_b32 v19, v18, v9 offset0:12 offset1:207
	;; [unrolled: 2-line block ×4, first 2 shown]
	v_cmpx_eq_u32_e32 0xc2, v5
	s_cbranch_execz .LBB0_14
; %bb.13:
	v_add_co_u32 v5, s0, 0x1800, v0
	v_add_co_ci_u32_e64 v6, s0, 0, v6, s0
	global_load_dword v0, v[5:6], off offset:1656
	v_mov_b32_e32 v6, 0
	v_mov_b32_e32 v5, 0xc2
	s_waitcnt vmcnt(0)
	ds_write_b32 v6, v0 offset:7800
.LBB0_14:
	s_or_b32 exec_lo, exec_lo, s4
.LBB0_15:
	s_or_b32 exec_lo, exec_lo, s1
	v_lshlrev_b32_e32 v6, 2, v5
	s_waitcnt lgkmcnt(0)
	s_barrier
	buffer_gl0_inv
	s_add_u32 s1, s12, 0x1e44
	v_add_nc_u32_e32 v0, 0, v6
	v_sub_nc_u32_e32 v8, 0, v6
	s_addc_u32 s4, s13, 0
	s_mov_b32 s5, exec_lo
                                        ; implicit-def: $vgpr6_vgpr7
	ds_read_u16 v11, v0
	ds_read_u16 v12, v8 offset:7800
	s_waitcnt lgkmcnt(0)
	v_add_f16_e32 v10, v12, v11
	v_sub_f16_e32 v9, v11, v12
	v_cmpx_ne_u32_e32 0, v5
	s_xor_b32 s5, exec_lo, s5
	s_cbranch_execz .LBB0_17
; %bb.16:
	v_mov_b32_e32 v6, 0
	v_add_f16_e32 v13, v12, v11
	v_sub_f16_e32 v11, v11, v12
	v_lshlrev_b64 v[9:10], 2, v[5:6]
	v_add_co_u32 v9, s0, s1, v9
	v_add_co_ci_u32_e64 v10, s0, s4, v10, s0
	global_load_dword v7, v[9:10], off
	ds_read_u16 v9, v8 offset:7802
	ds_read_u16 v10, v0 offset:2
	s_waitcnt lgkmcnt(0)
	v_add_f16_e32 v12, v9, v10
	v_sub_f16_e32 v9, v10, v9
	s_waitcnt vmcnt(0)
	v_lshrrev_b32_e32 v14, 16, v7
	v_fma_f16 v15, -v11, v14, v13
	v_fma_f16 v16, v12, v14, -v9
	v_fma_f16 v9, v12, v14, v9
	v_fma_f16 v10, v11, v14, v13
	v_fmac_f16_e32 v15, v7, v12
	v_fmac_f16_e32 v16, v11, v7
	;; [unrolled: 1-line block ×3, first 2 shown]
	v_fma_f16 v10, -v7, v12, v10
	v_mov_b32_e32 v7, v6
	v_mov_b32_e32 v6, v5
	v_pack_b32_f16 v11, v15, v16
	ds_write_b32 v8, v11 offset:7800
.LBB0_17:
	s_andn2_saveexec_b32 s0, s5
	s_cbranch_execz .LBB0_19
; %bb.18:
	v_mov_b32_e32 v11, 0
	ds_read_b32 v6, v11 offset:3900
	s_waitcnt lgkmcnt(0)
	v_pk_mul_f16 v12, 0xc0004000, v6
	v_mov_b32_e32 v6, 0
	v_mov_b32_e32 v7, 0
	ds_write_b32 v11, v12 offset:3900
.LBB0_19:
	s_or_b32 exec_lo, exec_lo, s0
	v_lshlrev_b64 v[6:7], 2, v[6:7]
	v_add_nc_u32_e32 v22, 0x1200, v0
	v_mov_b32_e32 v51, 0xba95
	v_mov_b32_e32 v36, 0x388b
	;; [unrolled: 1-line block ×4, first 2 shown]
	v_add_co_u32 v6, s0, s1, v6
	v_add_co_ci_u32_e64 v7, s0, s4, v7, s0
	v_mov_b32_e32 v63, 0xbb7b
	v_mov_b32_e32 v68, 0xb5ac
	v_mov_b32_e32 v18, 0xb3a8
	s_clause 0x1
	global_load_dword v11, v[6:7], off offset:780
	global_load_dword v12, v[6:7], off offset:1560
	v_add_co_u32 v6, s0, 0x800, v6
	v_add_co_ci_u32_e64 v7, s0, 0, v7, s0
	v_mov_b32_e32 v64, 0xbbc4
	v_mov_b32_e32 v19, 0x3b7b
	s_clause 0x1
	global_load_dword v13, v[6:7], off offset:292
	global_load_dword v6, v[6:7], off offset:1072
	v_perm_b32 v7, v9, v10, 0x5040100
	v_mov_b32_e32 v62, 0x394e
	v_mov_b32_e32 v70, 0xb9fd
	;; [unrolled: 1-line block ×4, first 2 shown]
	ds_write_b32 v0, v7
	ds_read_b32 v7, v0 offset:780
	ds_read_b32 v9, v8 offset:7020
	v_mov_b32_e32 v71, 0x3bf1
	v_mov_b32_e32 v72, 0xb94e
	s_mov_b32 s1, exec_lo
	s_waitcnt lgkmcnt(0)
	v_add_f16_e32 v10, v7, v9
	v_add_f16_sdwa v14, v9, v7 dst_sel:DWORD dst_unused:UNUSED_PAD src0_sel:WORD_1 src1_sel:WORD_1
	v_sub_f16_e32 v15, v7, v9
	v_sub_f16_sdwa v7, v7, v9 dst_sel:DWORD dst_unused:UNUSED_PAD src0_sel:WORD_1 src1_sel:WORD_1
	s_waitcnt vmcnt(3)
	v_lshrrev_b32_e32 v16, 16, v11
	v_fma_f16 v9, v15, v16, v10
	v_fma_f16 v17, v14, v16, v7
	v_fma_f16 v10, -v15, v16, v10
	v_fma_f16 v7, v14, v16, -v7
	v_fma_f16 v9, -v11, v14, v9
	v_fmac_f16_e32 v17, v15, v11
	v_fmac_f16_e32 v10, v11, v14
	;; [unrolled: 1-line block ×3, first 2 shown]
	v_pack_b32_f16 v9, v9, v17
	v_pack_b32_f16 v7, v10, v7
	s_waitcnt vmcnt(2)
	v_lshrrev_b32_e32 v10, 16, v12
	ds_write_b32 v0, v9 offset:780
	ds_write_b32 v8, v7 offset:7020
	ds_read_b32 v7, v0 offset:1560
	ds_read_b32 v9, v8 offset:6240
	s_waitcnt lgkmcnt(0)
	v_add_f16_e32 v11, v7, v9
	v_add_f16_sdwa v14, v9, v7 dst_sel:DWORD dst_unused:UNUSED_PAD src0_sel:WORD_1 src1_sel:WORD_1
	v_sub_f16_e32 v15, v7, v9
	v_sub_f16_sdwa v7, v7, v9 dst_sel:DWORD dst_unused:UNUSED_PAD src0_sel:WORD_1 src1_sel:WORD_1
	v_fma_f16 v9, v15, v10, v11
	v_fma_f16 v16, v14, v10, v7
	v_fma_f16 v11, -v15, v10, v11
	v_fma_f16 v7, v14, v10, -v7
	s_waitcnt vmcnt(1)
	v_lshrrev_b32_e32 v10, 16, v13
	v_fma_f16 v9, -v12, v14, v9
	v_fmac_f16_e32 v16, v15, v12
	v_fmac_f16_e32 v11, v12, v14
	;; [unrolled: 1-line block ×3, first 2 shown]
	v_pack_b32_f16 v9, v9, v16
	v_pack_b32_f16 v7, v11, v7
	ds_write_b32 v0, v9 offset:1560
	ds_write_b32 v8, v7 offset:6240
	ds_read_b32 v7, v0 offset:2340
	ds_read_b32 v9, v8 offset:5460
	s_waitcnt lgkmcnt(0)
	v_add_f16_e32 v11, v7, v9
	v_add_f16_sdwa v12, v9, v7 dst_sel:DWORD dst_unused:UNUSED_PAD src0_sel:WORD_1 src1_sel:WORD_1
	v_sub_f16_e32 v14, v7, v9
	v_sub_f16_sdwa v7, v7, v9 dst_sel:DWORD dst_unused:UNUSED_PAD src0_sel:WORD_1 src1_sel:WORD_1
	v_fma_f16 v9, v14, v10, v11
	v_fma_f16 v15, v12, v10, v7
	v_fma_f16 v11, -v14, v10, v11
	v_fma_f16 v7, v12, v10, -v7
	s_waitcnt vmcnt(0)
	v_lshrrev_b32_e32 v10, 16, v6
	v_fma_f16 v9, -v13, v12, v9
	v_fmac_f16_e32 v15, v14, v13
	v_fmac_f16_e32 v11, v13, v12
	;; [unrolled: 1-line block ×3, first 2 shown]
	v_pack_b32_f16 v9, v9, v15
	v_pack_b32_f16 v7, v11, v7
	ds_write_b32 v0, v9 offset:2340
	ds_write_b32 v8, v7 offset:5460
	ds_read_b32 v7, v0 offset:3120
	ds_read_b32 v9, v8 offset:4680
	s_waitcnt lgkmcnt(0)
	v_add_f16_e32 v11, v7, v9
	v_add_f16_sdwa v12, v9, v7 dst_sel:DWORD dst_unused:UNUSED_PAD src0_sel:WORD_1 src1_sel:WORD_1
	v_sub_f16_e32 v13, v7, v9
	v_sub_f16_sdwa v7, v7, v9 dst_sel:DWORD dst_unused:UNUSED_PAD src0_sel:WORD_1 src1_sel:WORD_1
	v_fma_f16 v9, v13, v10, v11
	v_fma_f16 v14, v12, v10, v7
	v_fma_f16 v11, -v13, v10, v11
	v_fma_f16 v7, v12, v10, -v7
	v_add_nc_u32_e32 v10, 0x400, v0
	v_fma_f16 v9, -v6, v12, v9
	v_fmac_f16_e32 v14, v13, v6
	v_fmac_f16_e32 v11, v6, v12
	;; [unrolled: 1-line block ×3, first 2 shown]
	v_add_nc_u32_e32 v12, 0x800, v0
	v_pack_b32_f16 v6, v9, v14
	v_add_nc_u32_e32 v9, 0x1600, v0
	v_pack_b32_f16 v7, v11, v7
	ds_write_b32 v0, v6 offset:3120
	ds_write_b32 v8, v7 offset:4680
	s_waitcnt lgkmcnt(0)
	s_barrier
	buffer_gl0_inv
	s_barrier
	buffer_gl0_inv
	ds_read_b32 v23, v0 offset:7200
	ds_read2_b32 v[6:7], v0 offset1:150
	ds_read2_b32 v[10:11], v10 offset0:44 offset1:194
	ds_read2_b32 v[8:9], v9 offset0:92 offset1:242
	;; [unrolled: 1-line block ×4, first 2 shown]
	v_add_nc_u32_e32 v14, 0xe00, v0
	ds_read2_b32 v[14:15], v14 offset0:4 offset1:154
	s_waitcnt lgkmcnt(0)
	s_barrier
	buffer_gl0_inv
	v_pk_add_f16 v35, v23, v7
	v_pk_add_f16 v30, v7, v23 neg_lo:[0,1] neg_hi:[0,1]
	v_pk_add_f16 v34, v9, v10
	v_pk_add_f16 v29, v10, v9 neg_lo:[0,1] neg_hi:[0,1]
	v_pk_add_f16 v28, v11, v8 neg_lo:[0,1] neg_hi:[0,1]
	v_mul_f16_sdwa v52, v35, v36 dst_sel:DWORD dst_unused:UNUSED_PAD src0_sel:WORD_1 src1_sel:DWORD
	v_mul_f16_sdwa v49, v30, v51 dst_sel:DWORD dst_unused:UNUSED_PAD src0_sel:WORD_1 src1_sel:DWORD
	v_mul_f16_sdwa v56, v30, v37 dst_sel:DWORD dst_unused:UNUSED_PAD src0_sel:WORD_1 src1_sel:DWORD
	v_mul_f16_sdwa v66, v35, v67 dst_sel:DWORD dst_unused:UNUSED_PAD src0_sel:WORD_1 src1_sel:DWORD
	v_pk_add_f16 v33, v8, v11
	v_mul_f16_sdwa v48, v29, v63 dst_sel:DWORD dst_unused:UNUSED_PAD src0_sel:WORD_1 src1_sel:DWORD
	v_mul_f16_sdwa v50, v34, v68 dst_sel:DWORD dst_unused:UNUSED_PAD src0_sel:WORD_1 src1_sel:DWORD
	;; [unrolled: 1-line block ×6, first 2 shown]
	v_fma_f16 v18, v35, 0x388b, -v49
	v_fmamk_f16 v19, v30, 0xba95, v52
	v_fma_f16 v20, v35, 0x2fb7, -v56
	v_fmamk_f16 v21, v30, 0xbbf1, v66
	v_pk_add_f16 v32, v13, v16
	v_pk_add_f16 v26, v16, v13 neg_lo:[0,1] neg_hi:[0,1]
	v_mul_f16_sdwa v47, v33, v64 dst_sel:DWORD dst_unused:UNUSED_PAD src0_sel:WORD_1 src1_sel:DWORD
	v_mul_f16_sdwa v61, v33, v68 dst_sel:DWORD dst_unused:UNUSED_PAD src0_sel:WORD_1 src1_sel:DWORD
	v_fma_f16 v73, v34, 0xb5ac, -v48
	v_fmamk_f16 v74, v29, 0xbb7b, v50
	v_fma_f16 v75, v34, 0xbbc4, -v57
	v_fmamk_f16 v76, v29, 0xb3a8, v65
	v_add_f16_e32 v18, v6, v18
	v_add_f16_sdwa v19, v6, v19 dst_sel:DWORD dst_unused:UNUSED_PAD src0_sel:WORD_1 src1_sel:DWORD
	v_add_f16_e32 v20, v6, v20
	v_add_f16_sdwa v21, v6, v21 dst_sel:DWORD dst_unused:UNUSED_PAD src0_sel:WORD_1 src1_sel:DWORD
	v_pk_add_f16 v31, v12, v17
	v_pk_add_f16 v25, v17, v12 neg_lo:[0,1] neg_hi:[0,1]
	v_mul_f16_sdwa v43, v26, v62 dst_sel:DWORD dst_unused:UNUSED_PAD src0_sel:WORD_1 src1_sel:DWORD
	v_mul_f16_sdwa v45, v32, v70 dst_sel:DWORD dst_unused:UNUSED_PAD src0_sel:WORD_1 src1_sel:DWORD
	v_mul_f16_sdwa v54, v26, v60 dst_sel:DWORD dst_unused:UNUSED_PAD src0_sel:WORD_1 src1_sel:DWORD
	v_mul_f16_sdwa v59, v32, v69 dst_sel:DWORD dst_unused:UNUSED_PAD src0_sel:WORD_1 src1_sel:DWORD
	v_fma_f16 v77, v33, 0xbbc4, -v46
	v_fmamk_f16 v78, v28, 0xb3a8, v47
	v_fma_f16 v79, v33, 0xb5ac, -v55
	v_fmamk_f16 v80, v28, 0x3b7b, v61
	v_add_f16_e32 v18, v73, v18
	v_add_f16_e32 v19, v74, v19
	;; [unrolled: 1-line block ×4, first 2 shown]
	v_pk_add_f16 v24, v14, v15 neg_lo:[0,1] neg_hi:[0,1]
	v_pk_add_f16 v27, v15, v14
	v_mul_f16_sdwa v41, v25, v71 dst_sel:DWORD dst_unused:UNUSED_PAD src0_sel:WORD_1 src1_sel:DWORD
	v_mul_f16_sdwa v42, v31, v67 dst_sel:DWORD dst_unused:UNUSED_PAD src0_sel:WORD_1 src1_sel:DWORD
	;; [unrolled: 1-line block ×4, first 2 shown]
	v_fma_f16 v81, v32, 0xb9fd, -v43
	v_fmamk_f16 v82, v26, 0x394e, v45
	v_fma_f16 v83, v32, 0x3b15, -v54
	v_fmamk_f16 v84, v26, 0x3770, v59
	v_add_f16_e32 v18, v77, v18
	v_add_f16_e32 v19, v78, v19
	;; [unrolled: 1-line block ×4, first 2 shown]
	v_mul_f16_sdwa v38, v24, v60 dst_sel:DWORD dst_unused:UNUSED_PAD src0_sel:WORD_1 src1_sel:DWORD
	v_mul_f16_sdwa v39, v27, v69 dst_sel:DWORD dst_unused:UNUSED_PAD src0_sel:WORD_1 src1_sel:DWORD
	;; [unrolled: 1-line block ×4, first 2 shown]
	v_fma_f16 v85, v31, 0x2fb7, -v41
	v_fmamk_f16 v86, v25, 0x3bf1, v42
	v_fma_f16 v87, v31, 0x388b, -v44
	v_fmamk_f16 v88, v25, 0xba95, v58
	v_add_f16_e32 v18, v81, v18
	v_add_f16_e32 v19, v82, v19
	;; [unrolled: 1-line block ×4, first 2 shown]
	v_fma_f16 v89, v27, 0x3b15, -v38
	v_fmamk_f16 v73, v24, 0x3770, v39
	v_fma_f16 v74, v27, 0xb9fd, -v40
	v_fmamk_f16 v75, v24, 0xb94e, v53
	v_add_f16_e32 v18, v85, v18
	v_add_f16_e32 v19, v86, v19
	;; [unrolled: 1-line block ×8, first 2 shown]
	v_cmpx_gt_u32_e32 0x96, v5
	s_cbranch_execz .LBB0_21
; %bb.20:
	v_mul_f16_sdwa v73, v35, v70 dst_sel:DWORD dst_unused:UNUSED_PAD src0_sel:WORD_1 src1_sel:DWORD
	v_mul_f16_sdwa v74, v34, v67 dst_sel:DWORD dst_unused:UNUSED_PAD src0_sel:WORD_1 src1_sel:DWORD
	;; [unrolled: 1-line block ×5, first 2 shown]
	v_fmamk_f16 v76, v30, 0x394e, v73
	v_fmamk_f16 v79, v29, 0xbbf1, v74
	;; [unrolled: 1-line block ×3, first 2 shown]
	v_mul_f16_sdwa v51, v28, v51 dst_sel:DWORD dst_unused:UNUSED_PAD src0_sel:WORD_1 src1_sel:DWORD
	v_mul_f16_sdwa v77, v32, v64 dst_sel:DWORD dst_unused:UNUSED_PAD src0_sel:WORD_1 src1_sel:DWORD
	v_add_f16_sdwa v76, v6, v76 dst_sel:DWORD dst_unused:UNUSED_PAD src0_sel:WORD_1 src1_sel:DWORD
	v_mov_b32_e32 v80, 0x33a8
	v_fmamk_f16 v81, v34, 0x2fb7, v71
	v_add_f16_e32 v78, v6, v78
	v_fmamk_f16 v82, v28, 0x3a95, v75
	v_add_f16_e32 v76, v79, v76
	v_fmamk_f16 v79, v33, 0x388b, v51
	v_mul_f16_sdwa v83, v26, v80 dst_sel:DWORD dst_unused:UNUSED_PAD src0_sel:WORD_1 src1_sel:DWORD
	v_add_f16_e32 v78, v81, v78
	v_fmamk_f16 v81, v26, 0xb3a8, v77
	v_add_f16_e32 v76, v82, v76
	v_mul_f16_sdwa v82, v31, v69 dst_sel:DWORD dst_unused:UNUSED_PAD src0_sel:WORD_1 src1_sel:DWORD
	v_fmamk_f16 v84, v32, 0xbbc4, v83
	v_add_f16_e32 v78, v79, v78
	v_mul_f16_sdwa v79, v35, v68 dst_sel:DWORD dst_unused:UNUSED_PAD src0_sel:WORD_1 src1_sel:DWORD
	v_add_f16_e32 v76, v81, v76
	v_fmamk_f16 v81, v25, 0xb770, v82
	v_mul_f16_sdwa v85, v25, v60 dst_sel:DWORD dst_unused:UNUSED_PAD src0_sel:WORD_1 src1_sel:DWORD
	v_add_f16_e32 v78, v84, v78
	v_fmamk_f16 v84, v30, 0x3b7b, v79
	;; [unrolled: 3-line block ×3, first 2 shown]
	v_mul_f16_sdwa v68, v27, v68 dst_sel:DWORD dst_unused:UNUSED_PAD src0_sel:WORD_1 src1_sel:DWORD
	v_add_f16_sdwa v84, v6, v84 dst_sel:DWORD dst_unused:UNUSED_PAD src0_sel:WORD_1 src1_sel:DWORD
	v_fmamk_f16 v86, v29, 0xb94e, v70
	v_mul_f16_sdwa v69, v33, v69 dst_sel:DWORD dst_unused:UNUSED_PAD src0_sel:WORD_1 src1_sel:DWORD
	v_add_f16_e32 v78, v81, v78
	v_fmamk_f16 v81, v24, 0x3b7b, v68
	v_mul_f16_sdwa v87, v24, v63 dst_sel:DWORD dst_unused:UNUSED_PAD src0_sel:WORD_1 src1_sel:DWORD
	v_add_f16_e32 v84, v86, v84
	;; [unrolled: 3-line block ×5, first 2 shown]
	v_fmamk_f16 v81, v35, 0xb5ac, v63
	v_mul_f16_sdwa v62, v29, v62 dst_sel:DWORD dst_unused:UNUSED_PAD src0_sel:WORD_1 src1_sel:DWORD
	v_mul_f16_e32 v88, 0xbbf1, v30
	v_add_f16_e32 v84, v86, v84
	v_fmamk_f16 v86, v25, 0xb3a8, v64
	v_add_f16_e32 v81, v6, v81
	v_fmamk_f16 v89, v34, 0xb9fd, v62
	v_mul_f16_sdwa v60, v28, v60 dst_sel:DWORD dst_unused:UNUSED_PAD src0_sel:WORD_1 src1_sel:DWORD
	v_mul_f16_e32 v90, 0xb3a8, v29
	v_sub_f16_e32 v66, v66, v88
	v_add_f16_e32 v84, v86, v84
	v_add_f16_e32 v81, v89, v81
	v_fmamk_f16 v86, v33, 0x3b15, v60
	v_sub_f16_e32 v65, v65, v90
	v_add_f16_sdwa v66, v6, v66 dst_sel:DWORD dst_unused:UNUSED_PAD src0_sel:WORD_1 src1_sel:DWORD
	v_mul_f16_sdwa v37, v26, v37 dst_sel:DWORD dst_unused:UNUSED_PAD src0_sel:WORD_1 src1_sel:DWORD
	v_mul_f16_e32 v88, 0x3b7b, v28
	v_add_f16_e32 v81, v86, v81
	v_mul_f16_sdwa v80, v25, v80 dst_sel:DWORD dst_unused:UNUSED_PAD src0_sel:WORD_1 src1_sel:DWORD
	v_add_f16_e32 v65, v65, v66
	v_fmamk_f16 v66, v32, 0x2fb7, v37
	v_sub_f16_e32 v61, v61, v88
	v_mul_f16_e32 v88, 0x3770, v26
	v_mul_f16_e32 v89, 0xbbc4, v34
	v_pk_add_f16 v7, v6, v7
	v_add_f16_e32 v66, v66, v81
	v_add_f16_e32 v61, v61, v65
	v_mul_f16_e32 v65, 0x2fb7, v35
	v_fmamk_f16 v81, v31, 0xbbc4, v80
	v_sub_f16_e32 v59, v59, v88
	v_mov_b32_e32 v88, 0x3a95
	v_add_f16_e32 v57, v89, v57
	v_add_f16_e32 v56, v65, v56
	;; [unrolled: 1-line block ×4, first 2 shown]
	v_mul_f16_sdwa v81, v24, v88 dst_sel:DWORD dst_unused:UNUSED_PAD src0_sel:WORD_1 src1_sel:DWORD
	v_mul_f16_e32 v88, 0xb5ac, v33
	v_add_f16_e32 v56, v6, v56
	v_mul_f16_e32 v66, 0xba95, v25
	v_pk_add_f16 v7, v7, v10
	v_fmamk_f16 v61, v27, 0x388b, v81
	v_add_f16_e32 v55, v88, v55
	v_add_f16_e32 v56, v57, v56
	v_sub_f16_e32 v58, v58, v66
	v_mul_f16_e32 v66, 0xbb7b, v29
	v_add_f16_e32 v61, v61, v65
	v_mul_f16_e32 v65, 0x3b15, v32
	v_add_f16_e32 v55, v55, v56
	;; [unrolled: 2-line block ×4, first 2 shown]
	v_mul_f16_e32 v65, 0x388b, v35
	v_sub_f16_e32 v52, v52, v56
	v_mul_f16_e32 v56, 0xb5ac, v34
	v_sub_f16_e32 v53, v53, v59
	v_add_f16_e32 v54, v54, v55
	v_add_f16_e32 v49, v65, v49
	v_mul_f16_e32 v55, 0xbbc4, v33
	v_add_f16_e32 v48, v56, v48
	v_sub_f16_e32 v50, v50, v66
	v_add_f16_sdwa v52, v6, v52 dst_sel:DWORD dst_unused:UNUSED_PAD src0_sel:WORD_1 src1_sel:DWORD
	v_add_f16_e32 v49, v6, v49
	v_add_f16_e32 v46, v55, v46
	v_mul_f16_e32 v55, 0xb9fd, v32
	v_mul_f16_e32 v59, 0xb3a8, v28
	v_add_f16_e32 v50, v50, v52
	v_add_f16_e32 v48, v48, v49
	v_mul_f16_e32 v49, 0x394e, v26
	v_add_f16_e32 v43, v55, v43
	v_sub_f16_e32 v47, v47, v59
	v_mul_f16_e32 v52, 0x388b, v31
	v_add_f16_e32 v46, v46, v48
	v_sub_f16_e32 v45, v45, v49
	v_mul_f16_e32 v49, 0x2fb7, v31
	v_add_f16_e32 v47, v47, v50
	v_mul_f16_e32 v48, 0x3bf1, v25
	v_add_f16_e32 v43, v43, v46
	;; [unrolled: 2-line block ×3, first 2 shown]
	v_fma_f16 v49, v34, 0x2fb7, -v71
	v_add_f16_e32 v45, v45, v47
	v_sub_f16_e32 v42, v42, v48
	v_add_f16_e32 v40, v46, v40
	v_fma_f16 v46, v35, 0xb9fd, -v72
	v_mul_f16_e32 v47, 0x3770, v24
	v_pk_add_f16 v7, v7, v11
	v_add_f16_e32 v44, v52, v44
	v_add_f16_e32 v42, v42, v45
	;; [unrolled: 1-line block ×3, first 2 shown]
	v_sub_f16_e32 v39, v39, v47
	v_fmac_f16_e32 v79, 0xbb7b, v30
	v_pk_add_f16 v7, v7, v16
	v_add_f16_e32 v44, v44, v54
	v_add_f16_e32 v46, v49, v46
	v_fma_f16 v49, v33, 0x388b, -v51
	v_add_f16_e32 v39, v39, v42
	v_pk_mul_f16 v42, 0xb770, v30 op_sel_hi:[0,1]
	v_add_f16_sdwa v51, v6, v79 dst_sel:DWORD dst_unused:UNUSED_PAD src0_sel:WORD_1 src1_sel:DWORD
	v_fmac_f16_e32 v70, 0x394e, v29
	v_add_f16_e32 v46, v49, v46
	v_fma_f16 v49, v32, 0xbbc4, -v83
	v_pk_add_f16 v7, v7, v17
	v_add_f16_e32 v40, v40, v44
	v_pk_mul_f16 v44, 0xba95, v29 op_sel_hi:[0,1]
	v_add_f16_e32 v51, v70, v51
	v_add_f16_e32 v46, v49, v46
	v_fma_f16 v49, v31, 0x3b15, -v85
	v_fmac_f16_e32 v69, 0x3770, v28
	v_pk_fma_f16 v17, 0x3b15, v35, v42 op_sel:[0,0,1] op_sel_hi:[0,1,0]
	v_pk_fma_f16 v42, 0x3b15, v35, v42 op_sel:[0,0,1] op_sel_hi:[0,1,0] neg_lo:[0,0,1] neg_hi:[0,0,1]
	v_pk_add_f16 v7, v7, v14
	v_add_f16_e32 v10, v49, v46
	v_fma_f16 v46, v35, 0xb5ac, -v63
	v_pk_mul_f16 v45, 0xbbf1, v28 op_sel_hi:[0,1]
	v_add_f16_e32 v51, v69, v51
	v_fmac_f16_e32 v67, 0xbbf1, v26
	v_fma_f16 v49, v27, 0xb5ac, -v87
	v_add_f16_e32 v11, v6, v46
	v_fma_f16 v46, v34, 0xb9fd, -v62
	v_bfi_b32 v14, 0xffff, v17, v42
	v_pk_add_f16 v7, v7, v15
	v_mul_f16_sdwa v36, v27, v36 dst_sel:DWORD dst_unused:UNUSED_PAD src0_sel:WORD_1 src1_sel:DWORD
	v_mul_f16_e32 v48, 0x3b15, v27
	v_add_f16_e32 v11, v46, v11
	v_fma_f16 v46, v33, 0x3b15, -v60
	v_pk_mul_f16 v47, 0xbb7b, v26 op_sel_hi:[0,1]
	v_add_f16_e32 v51, v67, v51
	v_fmac_f16_e32 v64, 0x33a8, v25
	v_add_f16_e32 v10, v49, v10
	v_add_f16_e32 v11, v46, v11
	v_pk_fma_f16 v46, 0x388b, v34, v44 op_sel:[0,0,1] op_sel_hi:[0,1,0]
	v_pk_fma_f16 v44, 0x388b, v34, v44 op_sel:[0,0,1] op_sel_hi:[0,1,0] neg_lo:[0,0,1] neg_hi:[0,0,1]
	v_pk_add_f16 v14, v6, v14
	v_pk_fma_f16 v49, 0x2fb7, v33, v45 op_sel:[0,0,1] op_sel_hi:[0,1,0]
	v_pk_fma_f16 v45, 0x2fb7, v33, v45 op_sel:[0,0,1] op_sel_hi:[0,1,0] neg_lo:[0,0,1] neg_hi:[0,0,1]
	v_pk_add_f16 v7, v7, v12
	v_bfi_b32 v15, 0xffff, v46, v44
	v_fmamk_f16 v86, v24, 0xba95, v36
	v_add_f16_e32 v38, v48, v38
	v_pk_mul_f16 v48, 0xb94e, v25 op_sel_hi:[0,1]
	v_add_f16_e32 v16, v64, v51
	v_fmac_f16_e32 v36, 0x3a95, v24
	v_pk_add_f16 v12, v15, v14
	v_bfi_b32 v14, 0xffff, v49, v45
	v_pk_fma_f16 v15, 0xb5ac, v32, v47 op_sel:[0,0,1] op_sel_hi:[0,1,0]
	v_pk_fma_f16 v47, 0xb5ac, v32, v47 op_sel:[0,0,1] op_sel_hi:[0,1,0] neg_lo:[0,0,1] neg_hi:[0,0,1]
	v_pk_add_f16 v7, v7, v13
	v_pk_mul_f16 v50, 0xb3a8, v24 op_sel_hi:[0,1]
	v_fma_f16 v37, v32, 0x2fb7, -v37
	v_add_f16_e32 v16, v36, v16
	v_pk_add_f16 v12, v14, v12
	v_bfi_b32 v13, 0xffff, v15, v47
	v_pk_fma_f16 v14, 0xb9fd, v31, v48 op_sel:[0,0,1] op_sel_hi:[0,1,0]
	v_pk_fma_f16 v36, 0xb9fd, v31, v48 op_sel:[0,0,1] op_sel_hi:[0,1,0] neg_lo:[0,0,1] neg_hi:[0,0,1]
	v_pk_add_f16 v7, v7, v8
	v_pk_mul_f16 v8, 0xbbc4, v35 op_sel_hi:[0,1]
	v_add_f16_e32 v11, v37, v11
	v_fma_f16 v37, v31, 0xbbc4, -v80
	v_pk_add_f16 v12, v13, v12
	v_bfi_b32 v13, 0xffff, v14, v36
	v_pk_fma_f16 v35, 0xbbc4, v27, v50 op_sel:[0,0,1] op_sel_hi:[0,1,0]
	v_pk_fma_f16 v48, 0xbbc4, v27, v50 op_sel:[0,0,1] op_sel_hi:[0,1,0] neg_lo:[0,0,1] neg_hi:[0,0,1]
	v_pk_fma_f16 v50, 0xb3a8, v30, v8 op_sel:[0,0,1] op_sel_hi:[0,1,0]
	v_pk_mul_f16 v34, 0x3b15, v34 op_sel_hi:[0,1]
	v_add_f16_e32 v11, v37, v11
	v_fma_f16 v37, v27, 0x388b, -v81
	v_pk_add_f16 v7, v7, v9
	v_pk_add_f16 v9, v13, v12
	v_bfi_b32 v12, 0xffff, v35, v48
	v_alignbit_b32 v13, s0, v50, 16
	v_pk_fma_f16 v51, 0x3770, v29, v34 op_sel:[0,0,1] op_sel_hi:[0,1,0]
	v_pk_mul_f16 v33, 0xb9fd, v33 op_sel_hi:[0,1]
	v_add_f16_e32 v11, v37, v11
	v_mad_u32_u24 v37, v5, 48, v0
	v_pk_add_f16 v7, v7, v23
	v_pk_add_f16 v9, v12, v9
	;; [unrolled: 1-line block ×3, first 2 shown]
	v_alignbit_b32 v13, s0, v51, 16
	v_pk_fma_f16 v23, 0xb94e, v28, v33 op_sel:[0,0,1] op_sel_hi:[0,1,0]
	v_pk_mul_f16 v32, 0x388b, v32 op_sel_hi:[0,1]
	v_add_f16_e32 v41, v41, v43
	v_add_f16_e32 v43, v53, v58
	ds_write2_b32 v37, v7, v9 offset1:1
	v_pk_add_f16 v9, v13, v12
	v_alignbit_b32 v12, s0, v23, 16
	v_pk_fma_f16 v13, 0x3a95, v26, v32 op_sel:[0,0,1] op_sel_hi:[0,1,0]
	v_pk_mul_f16 v31, 0xb5ac, v31 op_sel_hi:[0,1]
	v_fmac_f16_e32 v73, 0xb94e, v30
	v_pack_b32_f16 v7, v40, v43
	v_alignbit_b32 v40, s0, v6, 16
	v_pk_fma_f16 v8, 0xb3a8, v30, v8 op_sel:[0,0,1] op_sel_hi:[0,1,0] neg_lo:[0,1,0] neg_hi:[0,1,0]
	v_pk_add_f16 v9, v12, v9
	v_alignbit_b32 v12, s0, v13, 16
	v_pk_fma_f16 v30, 0xbb7b, v25, v31 op_sel:[0,0,1] op_sel_hi:[0,1,0]
	v_add_f16_e32 v38, v38, v41
	v_fmac_f16_e32 v74, 0x3bf1, v29
	v_pk_add_f16 v40, v40, v50
	v_pk_add_f16 v8, v6, v8 op_sel:[1,0] op_sel_hi:[0,1]
	v_pk_fma_f16 v29, 0x3770, v29, v34 op_sel:[0,0,1] op_sel_hi:[0,1,0] neg_lo:[0,1,0] neg_hi:[0,1,0]
	v_pk_add_f16 v9, v12, v9
	v_alignbit_b32 v12, s0, v30, 16
	v_add_f16_sdwa v41, v6, v73 dst_sel:DWORD dst_unused:UNUSED_PAD src0_sel:WORD_1 src1_sel:DWORD
	v_fmac_f16_e32 v75, 0xba95, v28
	v_pack_b32_f16 v34, v38, v39
	v_pk_add_f16 v38, v51, v40
	v_pk_add_f16 v8, v29, v8
	v_pk_fma_f16 v28, 0xb94e, v28, v33 op_sel:[0,0,1] op_sel_hi:[0,1,0] neg_lo:[0,1,0] neg_hi:[0,1,0]
	v_pk_add_f16 v9, v12, v9
	v_bfi_b32 v12, 0xffff, v42, v17
	v_add_f16_e32 v41, v74, v41
	v_fmac_f16_e32 v77, 0x33a8, v26
	v_pk_mul_f16 v17, 0x2fb7, v27 op_sel_hi:[0,1]
	v_pk_add_f16 v23, v23, v38
	v_pk_add_f16 v8, v28, v8
	v_pk_fma_f16 v26, 0x3a95, v26, v32 op_sel:[0,0,1] op_sel_hi:[0,1,0] neg_lo:[0,1,0] neg_hi:[0,1,0]
	v_pk_add_f16 v6, v6, v12
	v_bfi_b32 v12, 0xffff, v44, v46
	v_add_f16_e32 v41, v75, v41
	v_pk_fma_f16 v27, 0x3bf1, v24, v17 op_sel:[0,0,1] op_sel_hi:[0,1,0]
	v_pk_add_f16 v13, v13, v23
	v_pk_add_f16 v8, v26, v8
	v_pk_fma_f16 v23, 0xbb7b, v25, v31 op_sel:[0,0,1] op_sel_hi:[0,1,0] neg_lo:[0,1,0] neg_hi:[0,1,0]
	v_pk_add_f16 v6, v12, v6
	v_bfi_b32 v12, 0xffff, v45, v49
	v_add_f16_e32 v41, v77, v41
	v_fmac_f16_e32 v82, 0x3770, v25
	v_alignbit_b32 v25, s0, v27, 16
	v_pk_add_f16 v13, v30, v13
	v_pk_add_f16 v8, v23, v8
	v_pk_fma_f16 v17, 0x3bf1, v24, v17 op_sel:[0,0,1] op_sel_hi:[0,1,0] neg_lo:[0,1,0] neg_hi:[0,1,0]
	v_pk_add_f16 v6, v12, v6
	v_bfi_b32 v12, 0xffff, v47, v15
	v_add_f16_e32 v41, v82, v41
	v_fmac_f16_e32 v68, 0xbb7b, v24
	ds_write2_b32 v37, v34, v7 offset0:2 offset1:3
	v_pk_add_f16 v7, v25, v9
	v_pk_add_f16 v9, v27, v13
	;; [unrolled: 1-line block ×4, first 2 shown]
	v_bfi_b32 v12, 0xffff, v36, v14
	v_add_f16_e32 v57, v86, v84
	v_add_f16_e32 v41, v68, v41
	v_alignbit_b32 v9, v9, v8, 16
	v_pack_b32_f16 v7, v7, v8
	v_pk_add_f16 v6, v12, v6
	v_bfi_b32 v8, 0xffff, v48, v35
	v_pack_b32_f16 v13, v78, v76
	v_pack_b32_f16 v14, v61, v57
	;; [unrolled: 1-line block ×4, first 2 shown]
	v_perm_b32 v12, v20, v18, 0x5040100
	v_perm_b32 v15, v21, v19, 0x5040100
	v_pk_add_f16 v6, v8, v6
	ds_write2_b32 v37, v14, v13 offset0:4 offset1:5
	ds_write2_b32 v37, v7, v9 offset0:6 offset1:7
	;; [unrolled: 1-line block ×4, first 2 shown]
	ds_write_b32 v37, v6 offset:48
.LBB0_21:
	s_or_b32 exec_lo, exec_lo, s1
	v_and_b32_e32 v13, 0xff, v5
	v_add_nc_u32_e32 v14, 0xc3, v5
	v_mov_b32_e32 v7, 0x4ec5
	s_waitcnt lgkmcnt(0)
	s_barrier
	v_mul_lo_u16 v6, 0x4f, v13
	buffer_gl0_inv
	ds_read2_b32 v[15:16], v0 offset1:195
	ds_read2_b32 v[27:28], v22 offset0:18 offset1:213
	v_mul_lo_u16 v13, 0xfd, v13
	v_lshrrev_b16 v17, 10, v6
	v_mul_u32_u24_sdwa v6, v14, v7 dst_sel:DWORD dst_unused:UNUSED_PAD src0_sel:WORD_0 src1_sel:DWORD
	v_mov_b32_e32 v38, 0x104
	v_mov_b32_e32 v39, 2
	v_lshrrev_b16 v13, 14, v13
	v_mul_lo_u16 v7, v17, 13
	v_lshrrev_b32_e32 v35, 18, v6
	v_mov_b32_e32 v6, 4
	v_mul_u32_u24_sdwa v17, v17, v38 dst_sel:DWORD dst_unused:UNUSED_PAD src0_sel:WORD_0 src1_sel:DWORD
	v_mul_lo_u16 v38, 0x41, v13
	v_sub_nc_u16 v36, v5, v7
	v_mul_lo_u16 v7, v35, 13
	v_mov_b32_e32 v40, 9
	v_mul_u32_u24_e32 v35, 0x104, v35
	v_sub_nc_u16 v38, v5, v38
	v_lshlrev_b32_sdwa v8, v6, v36 dst_sel:DWORD dst_unused:UNUSED_PAD src0_sel:DWORD src1_sel:BYTE_0
	v_sub_nc_u16 v37, v14, v7
	v_add_nc_u32_e32 v7, 0x600, v0
	s_waitcnt lgkmcnt(0)
	v_lshrrev_b32_e32 v44, 16, v27
	v_lshlrev_b32_sdwa v36, v39, v36 dst_sel:DWORD dst_unused:UNUSED_PAD src0_sel:DWORD src1_sel:BYTE_0
	global_load_dwordx4 v[9:12], v8, s[12:13]
	v_lshlrev_b32_sdwa v6, v6, v37 dst_sel:DWORD dst_unused:UNUSED_PAD src0_sel:DWORD src1_sel:WORD_0
	v_lshlrev_b32_sdwa v37, v39, v37 dst_sel:DWORD dst_unused:UNUSED_PAD src0_sel:DWORD src1_sel:WORD_0
	v_mul_u32_u24_sdwa v40, v38, v40 dst_sel:DWORD dst_unused:UNUSED_PAD src0_sel:BYTE_0 src1_sel:DWORD
	v_lshrrev_b32_e32 v43, 16, v28
	v_add3_u32 v17, 0, v17, v36
	global_load_dwordx4 v[23:26], v6, s[12:13]
	v_add_nc_u32_e32 v6, 0xc00, v0
	v_add_nc_u32_e32 v8, 0x1800, v0
	v_add3_u32 v35, 0, v35, v37
	ds_read2_b32 v[29:30], v6 offset0:12 offset1:207
	ds_read2_b32 v[31:32], v8 offset0:24 offset1:219
	;; [unrolled: 1-line block ×3, first 2 shown]
	v_lshlrev_b32_e32 v36, 2, v40
	v_lshrrev_b32_e32 v41, 16, v15
	v_lshrrev_b32_e32 v42, 16, v16
	s_waitcnt vmcnt(0) lgkmcnt(0)
	s_barrier
	buffer_gl0_inv
	v_cmp_gt_u32_e64 s0, 0x41, v5
	v_lshrrev_b32_e32 v48, 16, v29
	v_lshrrev_b32_e32 v49, 16, v31
	;; [unrolled: 1-line block ×6, first 2 shown]
	v_mul_f16_sdwa v37, v9, v47 dst_sel:DWORD dst_unused:UNUSED_PAD src0_sel:WORD_1 src1_sel:DWORD
	v_mul_f16_sdwa v40, v9, v33 dst_sel:DWORD dst_unused:UNUSED_PAD src0_sel:WORD_1 src1_sel:DWORD
	;; [unrolled: 1-line block ×10, first 2 shown]
	v_mul_f16_sdwa v59, v45, v24 dst_sel:DWORD dst_unused:UNUSED_PAD src0_sel:DWORD src1_sel:WORD_1
	v_mul_f16_sdwa v60, v30, v24 dst_sel:DWORD dst_unused:UNUSED_PAD src0_sel:DWORD src1_sel:WORD_1
	;; [unrolled: 1-line block ×6, first 2 shown]
	v_fmac_f16_e32 v37, v9, v33
	v_fma_f16 v9, v9, v47, -v40
	v_fmac_f16_e32 v51, v10, v29
	v_fma_f16 v10, v10, v48, -v52
	;; [unrolled: 2-line block ×8, first 2 shown]
	v_add_f16_e32 v28, v51, v53
	v_add_f16_e32 v33, v37, v55
	;; [unrolled: 1-line block ×5, first 2 shown]
	v_sub_f16_e32 v31, v37, v51
	v_sub_f16_e32 v32, v55, v53
	;; [unrolled: 1-line block ×6, first 2 shown]
	v_add_f16_e32 v52, v59, v61
	v_add_f16_e32 v66, v42, v23
	;; [unrolled: 1-line block ×6, first 2 shown]
	v_sub_f16_e32 v29, v9, v12
	v_sub_f16_e32 v30, v10, v11
	;; [unrolled: 1-line block ×5, first 2 shown]
	v_fma_f16 v28, -0.5, v28, v15
	v_fma_f16 v15, -0.5, v33, v15
	v_add_f16_e32 v10, v43, v10
	v_fma_f16 v33, -0.5, v44, v41
	v_sub_f16_e32 v45, v51, v53
	v_add_f16_e32 v50, v16, v57
	v_fmac_f16_e32 v41, -0.5, v48
	v_sub_f16_e32 v54, v23, v26
	v_sub_f16_e32 v56, v24, v25
	;; [unrolled: 1-line block ×7, first 2 shown]
	v_add_f16_e32 v31, v31, v32
	v_add_f16_e32 v32, v34, v40
	;; [unrolled: 1-line block ×3, first 2 shown]
	v_fma_f16 v43, -0.5, v52, v16
	v_add_f16_e32 v24, v66, v24
	v_fma_f16 v47, -0.5, v67, v42
	v_sub_f16_e32 v60, v63, v61
	v_sub_f16_e32 v68, v59, v61
	v_add_f16_e32 v27, v27, v51
	v_fmac_f16_e32 v16, -0.5, v62
	v_fmac_f16_e32 v42, -0.5, v71
	v_add_f16_e32 v9, v9, v49
	v_fmamk_f16 v49, v29, 0xbb9c, v28
	v_add_f16_e32 v10, v10, v11
	v_fmamk_f16 v11, v37, 0x3b9c, v33
	;; [unrolled: 2-line block ×3, first 2 shown]
	v_fmac_f16_e32 v15, 0xbb9c, v30
	v_fmamk_f16 v51, v45, 0xbb9c, v41
	v_fmac_f16_e32 v41, 0x3b9c, v45
	v_fmac_f16_e32 v28, 0x3b9c, v29
	;; [unrolled: 1-line block ×3, first 2 shown]
	v_sub_f16_e32 v70, v26, v25
	v_sub_f16_e32 v72, v25, v26
	v_fmamk_f16 v52, v54, 0xbb9c, v43
	v_add_f16_e32 v24, v24, v25
	v_fmamk_f16 v25, v57, 0x3b9c, v47
	v_sub_f16_e32 v65, v61, v63
	v_add_f16_e32 v44, v58, v60
	v_add_f16_e32 v27, v27, v53
	v_fmac_f16_e32 v43, 0x3b9c, v54
	v_fmamk_f16 v53, v56, 0x3b9c, v16
	v_fmac_f16_e32 v16, 0xbb9c, v56
	v_fmac_f16_e32 v47, 0xbb9c, v57
	v_fmamk_f16 v58, v68, 0xbb9c, v42
	v_fmac_f16_e32 v42, 0x3b9c, v68
	v_fmac_f16_e32 v49, 0xb8b4, v30
	;; [unrolled: 1-line block ×3, first 2 shown]
	v_add_f16_e32 v40, v40, v61
	v_fmac_f16_e32 v50, 0xb8b4, v29
	v_fmac_f16_e32 v15, 0x38b4, v29
	;; [unrolled: 1-line block ×6, first 2 shown]
	v_add_f16_e32 v48, v69, v70
	v_fmac_f16_e32 v52, 0xb8b4, v56
	v_fmac_f16_e32 v25, 0x38b4, v68
	v_add_f16_e32 v46, v64, v65
	v_add_f16_e32 v23, v23, v72
	v_fmac_f16_e32 v43, 0x38b4, v56
	v_fmac_f16_e32 v53, 0xb8b4, v54
	;; [unrolled: 1-line block ×6, first 2 shown]
	v_add_f16_e32 v27, v27, v55
	v_add_f16_e32 v10, v10, v12
	v_fmac_f16_e32 v49, 0x34f2, v31
	v_fmac_f16_e32 v11, 0x34f2, v34
	v_add_f16_e32 v12, v40, v63
	v_add_f16_e32 v24, v24, v26
	v_fmac_f16_e32 v50, 0x34f2, v32
	v_fmac_f16_e32 v15, 0x34f2, v32
	;; [unrolled: 1-line block ×14, first 2 shown]
	v_pack_b32_f16 v9, v27, v10
	v_pack_b32_f16 v11, v49, v11
	;; [unrolled: 1-line block ×10, first 2 shown]
	ds_write2_b32 v17, v9, v11 offset1:13
	ds_write2_b32 v17, v12, v15 offset0:26 offset1:39
	ds_write_b32 v17, v23 offset:208
	ds_write2_b32 v35, v10, v24 offset1:13
	ds_write2_b32 v35, v25, v16 offset0:26 offset1:39
	ds_write_b32 v35, v26 offset:208
	s_waitcnt lgkmcnt(0)
	s_barrier
	buffer_gl0_inv
	s_clause 0x2
	global_load_dwordx4 v[9:12], v36, s[12:13] offset:208
	global_load_dwordx4 v[23:26], v36, s[12:13] offset:224
	global_load_dword v17, v36, s[12:13] offset:240
	ds_read2_b32 v[27:28], v0 offset1:195
	ds_read2_b32 v[29:30], v22 offset0:18 offset1:213
	ds_read2_b32 v[31:32], v8 offset0:24 offset1:219
	;; [unrolled: 1-line block ×4, first 2 shown]
	v_mov_b32_e32 v15, 0xa28
	v_add_nc_u32_e32 v16, 0x1400, v0
	s_waitcnt vmcnt(0) lgkmcnt(0)
	s_barrier
	buffer_gl0_inv
	v_mul_u32_u24_sdwa v13, v13, v15 dst_sel:DWORD dst_unused:UNUSED_PAD src0_sel:WORD_0 src1_sel:DWORD
	v_lshlrev_b32_sdwa v15, v39, v38 dst_sel:DWORD dst_unused:UNUSED_PAD src0_sel:DWORD src1_sel:BYTE_0
	v_add3_u32 v6, 0, v13, v15
	v_add_nc_u32_e32 v15, 0xa00, v0
	v_lshrrev_b32_e32 v40, 16, v28
	v_lshrrev_b32_e32 v36, 16, v29
	;; [unrolled: 1-line block ×10, first 2 shown]
	v_add_nc_u32_e32 v13, 0x400, v6
	v_add_nc_u32_e32 v35, 0x800, v6
	v_mul_f16_sdwa v45, v9, v40 dst_sel:DWORD dst_unused:UNUSED_PAD src0_sel:WORD_1 src1_sel:DWORD
	v_mul_f16_sdwa v46, v9, v28 dst_sel:DWORD dst_unused:UNUSED_PAD src0_sel:WORD_1 src1_sel:DWORD
	;; [unrolled: 1-line block ×10, first 2 shown]
	v_mul_f16_sdwa v55, v36, v24 dst_sel:DWORD dst_unused:UNUSED_PAD src0_sel:DWORD src1_sel:WORD_1
	v_mul_f16_sdwa v56, v29, v24 dst_sel:DWORD dst_unused:UNUSED_PAD src0_sel:DWORD src1_sel:WORD_1
	v_mul_f16_sdwa v58, v30, v25 dst_sel:DWORD dst_unused:UNUSED_PAD src0_sel:DWORD src1_sel:WORD_1
	v_mul_f16_sdwa v59, v38, v26 dst_sel:DWORD dst_unused:UNUSED_PAD src0_sel:DWORD src1_sel:WORD_1
	v_mul_f16_sdwa v60, v31, v26 dst_sel:DWORD dst_unused:UNUSED_PAD src0_sel:DWORD src1_sel:WORD_1
	v_mul_f16_sdwa v61, v39, v17 dst_sel:DWORD dst_unused:UNUSED_PAD src0_sel:DWORD src1_sel:WORD_1
	v_mul_f16_sdwa v62, v32, v17 dst_sel:DWORD dst_unused:UNUSED_PAD src0_sel:DWORD src1_sel:WORD_1
	v_mul_f16_sdwa v57, v37, v25 dst_sel:DWORD dst_unused:UNUSED_PAD src0_sel:DWORD src1_sel:WORD_1
	v_fmac_f16_e32 v45, v9, v28
	v_fma_f16 v9, v9, v40, -v46
	v_fmac_f16_e32 v47, v10, v7
	v_fma_f16 v7, v10, v41, -v48
	;; [unrolled: 2-line block ×6, first 2 shown]
	v_fma_f16 v23, v37, v25, -v58
	v_fmac_f16_e32 v59, v31, v26
	v_fma_f16 v24, v38, v26, -v60
	v_fmac_f16_e32 v61, v32, v17
	;; [unrolled: 2-line block ×3, first 2 shown]
	v_sub_f16_e32 v30, v47, v51
	v_sub_f16_e32 v31, v59, v55
	;; [unrolled: 1-line block ×6, first 2 shown]
	v_add_f16_e32 v60, v9, v8
	v_add_f16_e32 v62, v11, v23
	;; [unrolled: 1-line block ×6, first 2 shown]
	v_sub_f16_e32 v38, v47, v59
	v_add_f16_e32 v44, v45, v49
	v_add_f16_e32 v46, v53, v57
	v_sub_f16_e32 v47, v8, v17
	v_sub_f16_e32 v48, v11, v23
	;; [unrolled: 1-line block ×3, first 2 shown]
	v_add_f16_e32 v54, v49, v61
	v_sub_f16_e32 v56, v53, v49
	v_sub_f16_e32 v49, v49, v61
	;; [unrolled: 1-line block ×4, first 2 shown]
	v_add_f16_e32 v30, v30, v31
	v_add_f16_e32 v31, v33, v34
	;; [unrolled: 1-line block ×4, first 2 shown]
	v_fma_f16 v41, -0.5, v62, v9
	v_add_f16_e32 v26, v51, v55
	v_add_f16_e32 v37, v10, v12
	;; [unrolled: 1-line block ×3, first 2 shown]
	v_sub_f16_e32 v52, v61, v57
	v_sub_f16_e32 v63, v53, v57
	v_fmac_f16_e32 v9, -0.5, v66
	v_sub_f16_e32 v28, v7, v24
	v_sub_f16_e32 v29, v10, v12
	;; [unrolled: 1-line block ×5, first 2 shown]
	v_add_f16_e32 v10, v36, v10
	v_fma_f16 v36, -0.5, v46, v45
	v_add_f16_e32 v11, v11, v23
	v_fmamk_f16 v23, v49, 0x3b9c, v41
	v_sub_f16_e32 v39, v51, v55
	v_add_f16_e32 v25, v25, v51
	v_fma_f16 v26, -0.5, v26, v27
	v_fmac_f16_e32 v27, -0.5, v32
	v_fma_f16 v32, -0.5, v37, v22
	v_fmac_f16_e32 v22, -0.5, v42
	v_add_f16_e32 v34, v44, v53
	v_add_f16_e32 v37, v50, v52
	v_fmac_f16_e32 v45, -0.5, v54
	v_fmamk_f16 v52, v63, 0xbb9c, v9
	v_fmac_f16_e32 v9, 0x3b9c, v63
	v_sub_f16_e32 v43, v12, v24
	v_fmac_f16_e32 v41, 0xbb9c, v49
	v_add_f16_e32 v42, v64, v65
	v_add_f16_e32 v10, v10, v12
	v_fmamk_f16 v50, v47, 0xbb9c, v36
	v_fmac_f16_e32 v23, 0x38b4, v63
	v_sub_f16_e32 v58, v57, v61
	v_add_f16_e32 v8, v8, v67
	v_add_f16_e32 v25, v25, v55
	v_fmamk_f16 v46, v39, 0xbb9c, v22
	v_fmac_f16_e32 v22, 0x3b9c, v39
	v_add_f16_e32 v34, v34, v57
	v_fmamk_f16 v51, v48, 0x3b9c, v45
	v_fmac_f16_e32 v45, 0xbb9c, v48
	v_fmac_f16_e32 v52, 0x38b4, v49
	;; [unrolled: 1-line block ×3, first 2 shown]
	v_add_f16_e32 v7, v7, v43
	v_fmamk_f16 v43, v28, 0xbb9c, v26
	v_fmac_f16_e32 v26, 0x3b9c, v28
	v_fmac_f16_e32 v36, 0x3b9c, v47
	;; [unrolled: 1-line block ×3, first 2 shown]
	v_fmamk_f16 v12, v38, 0x3b9c, v32
	v_add_f16_e32 v10, v10, v24
	v_fmac_f16_e32 v50, 0xb8b4, v48
	v_add_f16_e32 v11, v11, v17
	v_fmac_f16_e32 v23, 0x34f2, v42
	v_add_f16_e32 v40, v56, v58
	v_fmamk_f16 v44, v29, 0x3b9c, v27
	v_fmac_f16_e32 v27, 0xbb9c, v29
	v_add_f16_e32 v25, v25, v59
	v_fmac_f16_e32 v46, 0x38b4, v38
	v_fmac_f16_e32 v22, 0xb8b4, v38
	v_add_f16_e32 v24, v34, v61
	v_fmac_f16_e32 v51, 0xb8b4, v47
	v_fmac_f16_e32 v45, 0x38b4, v47
	;; [unrolled: 1-line block ×11, first 2 shown]
	v_add_f16_e32 v8, v10, v11
	v_sub_f16_e32 v10, v10, v11
	v_mul_f16_e32 v11, 0xb8b4, v23
	v_mul_f16_e32 v23, 0x3a79, v23
	v_fmac_f16_e32 v44, 0xb8b4, v28
	v_fmac_f16_e32 v27, 0x38b4, v28
	;; [unrolled: 1-line block ×6, first 2 shown]
	v_add_f16_e32 v7, v25, v24
	v_sub_f16_e32 v17, v25, v24
	v_mul_f16_e32 v24, 0xbb9c, v52
	v_mul_f16_e32 v25, 0xbb9c, v9
	;; [unrolled: 1-line block ×4, first 2 shown]
	v_fmac_f16_e32 v32, 0xb8b4, v39
	v_fmac_f16_e32 v43, 0x34f2, v30
	;; [unrolled: 1-line block ×4, first 2 shown]
	v_mul_f16_e32 v28, 0xb8b4, v41
	v_mul_f16_e32 v30, 0xba79, v41
	v_fmac_f16_e32 v12, 0x34f2, v33
	v_fmac_f16_e32 v11, 0x3a79, v50
	;; [unrolled: 1-line block ×12, first 2 shown]
	v_pack_b32_f16 v7, v7, v8
	v_pack_b32_f16 v8, v17, v10
	v_add_f16_e32 v10, v43, v11
	v_add_f16_e32 v36, v12, v23
	;; [unrolled: 1-line block ×8, first 2 shown]
	v_sub_f16_e32 v11, v43, v11
	v_sub_f16_e32 v24, v44, v24
	;; [unrolled: 1-line block ×8, first 2 shown]
	v_pack_b32_f16 v10, v10, v36
	v_pack_b32_f16 v26, v31, v37
	;; [unrolled: 1-line block ×8, first 2 shown]
	ds_write2_b32 v6, v7, v10 offset1:65
	ds_write2_b32 v6, v26, v27 offset0:130 offset1:195
	ds_write2_b32 v13, v28, v8 offset0:4 offset1:69
	;; [unrolled: 1-line block ×4, first 2 shown]
	s_waitcnt lgkmcnt(0)
	s_barrier
	buffer_gl0_inv
	ds_read2_b32 v[6:7], v0 offset1:195
	ds_read2_b32 v[12:13], v15 offset0:10 offset1:205
	ds_read2_b32 v[10:11], v16 offset0:20 offset1:215
	ds_read_b32 v23, v0 offset:1560
	ds_read_b32 v25, v0 offset:4160
	;; [unrolled: 1-line block ×3, first 2 shown]
	s_and_saveexec_b32 s1, s0
	s_cbranch_execz .LBB0_23
; %bb.22:
	ds_read_b32 v17, v0 offset:2340
	ds_read_b32 v18, v0 offset:7540
	;; [unrolled: 1-line block ×3, first 2 shown]
	s_waitcnt lgkmcnt(2)
	v_lshrrev_b32_e32 v22, 16, v17
	s_waitcnt lgkmcnt(1)
	v_lshrrev_b32_e32 v20, 16, v18
	;; [unrolled: 2-line block ×3, first 2 shown]
.LBB0_23:
	s_or_b32 exec_lo, exec_lo, s1
	v_mov_b32_e32 v9, 0
	v_lshlrev_b32_e32 v8, 1, v5
	v_lshlrev_b32_e32 v26, 1, v14
	s_waitcnt lgkmcnt(4)
	v_lshrrev_b32_e32 v36, 16, v12
	s_waitcnt lgkmcnt(3)
	v_lshrrev_b32_e32 v38, 16, v10
	v_mov_b32_e32 v27, v9
	v_lshlrev_b64 v[28:29], 2, v[8:9]
	v_add_nc_u32_e32 v8, 0x30c, v8
	s_waitcnt lgkmcnt(1)
	v_lshrrev_b32_e32 v34, 16, v25
	v_lshrrev_b32_e32 v35, 16, v11
	v_lshlrev_b64 v[26:27], 2, v[26:27]
	v_lshrrev_b32_e32 v37, 16, v13
	v_add_co_u32 v14, s1, s12, v28
	v_add_co_ci_u32_e64 v31, s1, s13, v29, s1
	v_lshlrev_b64 v[28:29], 2, v[8:9]
	v_add_co_u32 v30, s1, 0x800, v14
	v_add_co_ci_u32_e64 v31, s1, 0, v31, s1
	v_add_co_u32 v8, s1, s12, v26
	v_add_co_ci_u32_e64 v14, s1, s13, v27, s1
	global_load_dwordx2 v[26:27], v[30:31], off offset:500
	v_add_co_u32 v30, s1, s12, v28
	v_add_co_ci_u32_e64 v31, s1, s13, v29, s1
	v_add_co_u32 v28, s1, 0x800, v8
	v_add_co_ci_u32_e64 v29, s1, 0, v14, s1
	;; [unrolled: 2-line block ×3, first 2 shown]
	s_clause 0x1
	global_load_dwordx2 v[28:29], v[28:29], off offset:500
	global_load_dwordx2 v[30:31], v[30:31], off offset:500
	s_waitcnt lgkmcnt(0)
	v_lshrrev_b32_e32 v33, 16, v24
	v_lshrrev_b32_e32 v8, 16, v6
	;; [unrolled: 1-line block ×4, first 2 shown]
	s_waitcnt vmcnt(0)
	s_barrier
	buffer_gl0_inv
	v_mul_f16_sdwa v39, v26, v36 dst_sel:DWORD dst_unused:UNUSED_PAD src0_sel:WORD_1 src1_sel:DWORD
	v_mul_f16_sdwa v40, v26, v12 dst_sel:DWORD dst_unused:UNUSED_PAD src0_sel:WORD_1 src1_sel:DWORD
	;; [unrolled: 1-line block ×4, first 2 shown]
	v_fmac_f16_e32 v39, v26, v12
	v_fma_f16 v12, v26, v36, -v40
	v_fmac_f16_e32 v41, v27, v10
	v_fma_f16 v10, v27, v38, -v42
	v_mul_f16_sdwa v26, v28, v37 dst_sel:DWORD dst_unused:UNUSED_PAD src0_sel:WORD_1 src1_sel:DWORD
	v_mul_f16_sdwa v27, v28, v13 dst_sel:DWORD dst_unused:UNUSED_PAD src0_sel:WORD_1 src1_sel:DWORD
	;; [unrolled: 1-line block ×8, first 2 shown]
	v_fmac_f16_e32 v26, v28, v13
	v_fma_f16 v13, v28, v37, -v27
	v_fmac_f16_e32 v36, v29, v11
	v_fma_f16 v11, v29, v35, -v38
	;; [unrolled: 2-line block ×3, first 2 shown]
	v_add_f16_e32 v28, v39, v41
	v_sub_f16_e32 v29, v12, v10
	v_add_f16_e32 v30, v8, v12
	v_add_f16_e32 v12, v12, v10
	v_fmac_f16_e32 v43, v31, v24
	v_fma_f16 v24, v31, v33, -v44
	v_add_f16_e32 v27, v6, v39
	v_fma_f16 v6, -0.5, v28, v6
	v_add_f16_e32 v10, v30, v10
	v_fmac_f16_e32 v8, -0.5, v12
	v_add_f16_e32 v12, v7, v26
	v_add_f16_e32 v28, v26, v36
	v_sub_f16_e32 v30, v13, v11
	v_add_f16_e32 v33, v14, v13
	v_add_f16_e32 v13, v13, v11
	;; [unrolled: 1-line block ×3, first 2 shown]
	v_sub_f16_e32 v37, v25, v24
	v_add_f16_e32 v38, v32, v25
	v_add_f16_e32 v25, v25, v24
	v_sub_f16_e32 v31, v39, v41
	v_add_f16_e32 v34, v23, v40
	v_add_f16_e32 v27, v27, v41
	v_sub_f16_e32 v26, v26, v36
	v_add_f16_e32 v12, v12, v36
	v_fmac_f16_e32 v7, -0.5, v28
	v_add_f16_e32 v11, v33, v11
	v_fmac_f16_e32 v14, -0.5, v13
	v_sub_f16_e32 v39, v40, v43
	v_fmac_f16_e32 v23, -0.5, v35
	v_fmac_f16_e32 v32, -0.5, v25
	v_fmamk_f16 v40, v29, 0xbaee, v6
	v_fmac_f16_e32 v6, 0x3aee, v29
	v_fmamk_f16 v29, v31, 0x3aee, v8
	v_fmac_f16_e32 v8, 0xbaee, v31
	v_add_f16_e32 v13, v34, v43
	v_add_f16_e32 v24, v38, v24
	v_pack_b32_f16 v10, v27, v10
	v_fmamk_f16 v25, v30, 0xbaee, v7
	v_fmamk_f16 v27, v26, 0x3aee, v14
	v_pack_b32_f16 v11, v12, v11
	v_fmac_f16_e32 v7, 0x3aee, v30
	v_fmac_f16_e32 v14, 0xbaee, v26
	v_fmamk_f16 v26, v37, 0xbaee, v23
	v_fmamk_f16 v28, v39, 0x3aee, v32
	v_fmac_f16_e32 v23, 0x3aee, v37
	v_fmac_f16_e32 v32, 0xbaee, v39
	v_pack_b32_f16 v6, v6, v8
	v_pack_b32_f16 v8, v13, v24
	;; [unrolled: 1-line block ×3, first 2 shown]
	ds_write2_b32 v0, v10, v11 offset1:195
	v_pack_b32_f16 v10, v25, v27
	v_pack_b32_f16 v7, v7, v14
	;; [unrolled: 1-line block ×4, first 2 shown]
	ds_write_b32 v0, v8 offset:1560
	ds_write2_b32 v15, v12, v10 offset0:10 offset1:205
	ds_write2_b32 v16, v6, v7 offset0:20 offset1:215
	ds_write_b32 v0, v11 offset:4160
	ds_write_b32 v0, v13 offset:6760
	s_and_saveexec_b32 s1, s0
	s_cbranch_execz .LBB0_25
; %bb.24:
	v_mov_b32_e32 v6, 0x249
	v_cndmask_b32_e64 v6, 0xffffffbf, v6, s0
	v_add_lshl_u32 v8, v5, v6, 1
	v_lshlrev_b64 v[6:7], 2, v[8:9]
	v_add_co_u32 v6, s0, s12, v6
	v_add_co_ci_u32_e64 v7, s0, s13, v7, s0
	v_add_co_u32 v6, s0, 0x800, v6
	v_add_co_ci_u32_e64 v7, s0, 0, v7, s0
	global_load_dwordx2 v[6:7], v[6:7], off offset:500
	s_waitcnt vmcnt(0)
	v_mul_f16_sdwa v8, v19, v6 dst_sel:DWORD dst_unused:UNUSED_PAD src0_sel:DWORD src1_sel:WORD_1
	v_mul_f16_sdwa v9, v18, v7 dst_sel:DWORD dst_unused:UNUSED_PAD src0_sel:DWORD src1_sel:WORD_1
	;; [unrolled: 1-line block ×4, first 2 shown]
	v_fma_f16 v8, v21, v6, -v8
	v_fma_f16 v9, v20, v7, -v9
	v_fmac_f16_e32 v10, v19, v6
	v_fmac_f16_e32 v11, v18, v7
	v_add_f16_e32 v13, v22, v8
	v_add_f16_e32 v6, v8, v9
	v_sub_f16_e32 v8, v8, v9
	v_add_f16_e32 v12, v10, v11
	v_sub_f16_e32 v7, v10, v11
	v_add_f16_e32 v10, v17, v10
	v_fma_f16 v6, -0.5, v6, v22
	v_add_f16_e32 v9, v13, v9
	v_fma_f16 v12, -0.5, v12, v17
	v_add_f16_e32 v10, v10, v11
	v_fmamk_f16 v11, v7, 0xbaee, v6
	v_fmac_f16_e32 v6, 0x3aee, v7
	v_fmamk_f16 v7, v8, 0x3aee, v12
	v_fmac_f16_e32 v12, 0xbaee, v8
	v_pack_b32_f16 v8, v10, v9
	v_pack_b32_f16 v7, v7, v11
	;; [unrolled: 1-line block ×3, first 2 shown]
	ds_write_b32 v0, v8 offset:2340
	ds_write_b32 v0, v6 offset:4940
	;; [unrolled: 1-line block ×3, first 2 shown]
.LBB0_25:
	s_or_b32 exec_lo, exec_lo, s1
	s_waitcnt lgkmcnt(0)
	s_barrier
	buffer_gl0_inv
	s_and_saveexec_b32 s0, vcc_lo
	s_cbranch_execz .LBB0_27
; %bb.26:
	v_mul_lo_u32 v0, s3, v3
	v_mul_lo_u32 v6, s2, v4
	v_mad_u64_u32 v[3:4], null, s2, v3, 0
	v_lshl_add_u32 v19, v5, 2, 0
	v_add_nc_u32_e32 v7, 0xc3, v5
	v_add_nc_u32_e32 v9, 0x186, v5
	;; [unrolled: 1-line block ×4, first 2 shown]
	ds_read2_b32 v[11:12], v19 offset1:195
	v_add3_u32 v4, v4, v6, v0
	v_lshlrev_b64 v[0:1], 2, v[1:2]
	v_mov_b32_e32 v6, 0
	v_lshlrev_b64 v[2:3], 2, v[3:4]
	v_mov_b32_e32 v10, v6
	v_mov_b32_e32 v14, v6
	;; [unrolled: 1-line block ×3, first 2 shown]
	v_add_co_u32 v4, vcc_lo, s10, v2
	v_add_co_ci_u32_e32 v8, vcc_lo, s11, v3, vcc_lo
	v_lshlrev_b64 v[2:3], 2, v[5:6]
	v_add_co_u32 v20, vcc_lo, v4, v0
	v_add_co_ci_u32_e32 v21, vcc_lo, v8, v1, vcc_lo
	v_mov_b32_e32 v8, v6
	v_add_co_u32 v0, vcc_lo, v20, v2
	v_add_co_ci_u32_e32 v1, vcc_lo, v21, v3, vcc_lo
	v_lshlrev_b64 v[2:3], 2, v[7:8]
	v_add_nc_u32_e32 v4, 0x600, v19
	v_lshlrev_b64 v[7:8], 2, v[9:10]
	s_waitcnt lgkmcnt(0)
	global_store_dword v[0:1], v11, off
	v_add_nc_u32_e32 v11, 0xc00, v19
	v_lshlrev_b64 v[9:10], 2, v[13:14]
	v_add_co_u32 v0, vcc_lo, v20, v2
	v_add_co_ci_u32_e32 v1, vcc_lo, v21, v3, vcc_lo
	ds_read2_b32 v[2:3], v4 offset0:6 offset1:201
	ds_read2_b32 v[15:16], v11 offset0:12 offset1:207
	v_add_nc_u32_e32 v13, 0x30c, v5
	v_add_co_u32 v7, vcc_lo, v20, v7
	v_add_co_ci_u32_e32 v8, vcc_lo, v21, v8, vcc_lo
	v_lshlrev_b64 v[13:14], 2, v[13:14]
	v_add_co_u32 v9, vcc_lo, v20, v9
	v_add_co_ci_u32_e32 v10, vcc_lo, v21, v10, vcc_lo
	v_add_nc_u32_e32 v4, 0x1200, v19
	v_add_co_u32 v13, vcc_lo, v20, v13
	v_add_co_ci_u32_e32 v14, vcc_lo, v21, v14, vcc_lo
	global_store_dword v[0:1], v12, off
	s_waitcnt lgkmcnt(1)
	global_store_dword v[7:8], v2, off
	global_store_dword v[9:10], v3, off
	s_waitcnt lgkmcnt(0)
	global_store_dword v[13:14], v15, off
	v_add_nc_u32_e32 v2, 0x492, v5
	v_mov_b32_e32 v3, v6
	ds_read2_b32 v[9:10], v4 offset0:18 offset1:213
	v_add_nc_u32_e32 v4, 0x1800, v19
	v_lshlrev_b64 v[0:1], 2, v[17:18]
	v_add_nc_u32_e32 v7, 0x555, v5
	v_mov_b32_e32 v8, v6
	v_lshlrev_b64 v[2:3], 2, v[2:3]
	v_add_nc_u32_e32 v11, 0x618, v5
	v_mov_b32_e32 v12, v6
	ds_read2_b32 v[13:14], v4 offset0:24 offset1:219
	v_add_co_u32 v0, vcc_lo, v20, v0
	v_lshlrev_b64 v[7:8], 2, v[7:8]
	v_add_nc_u32_e32 v5, 0x6db, v5
	v_add_co_ci_u32_e32 v1, vcc_lo, v21, v1, vcc_lo
	v_add_co_u32 v2, vcc_lo, v20, v2
	v_lshlrev_b64 v[11:12], 2, v[11:12]
	v_add_co_ci_u32_e32 v3, vcc_lo, v21, v3, vcc_lo
	v_add_co_u32 v7, vcc_lo, v20, v7
	v_lshlrev_b64 v[4:5], 2, v[5:6]
	v_add_co_ci_u32_e32 v8, vcc_lo, v21, v8, vcc_lo
	v_add_co_u32 v11, vcc_lo, v20, v11
	v_add_co_ci_u32_e32 v12, vcc_lo, v21, v12, vcc_lo
	v_add_co_u32 v4, vcc_lo, v20, v4
	v_add_co_ci_u32_e32 v5, vcc_lo, v21, v5, vcc_lo
	global_store_dword v[0:1], v16, off
	s_waitcnt lgkmcnt(1)
	global_store_dword v[2:3], v9, off
	global_store_dword v[7:8], v10, off
	s_waitcnt lgkmcnt(0)
	global_store_dword v[11:12], v13, off
	global_store_dword v[4:5], v14, off
.LBB0_27:
	s_endpgm
	.section	.rodata,"a",@progbits
	.p2align	6, 0x0
	.amdhsa_kernel fft_rtc_back_len1950_factors_13_5_10_3_wgs_195_tpt_195_half_op_CI_CI_unitstride_sbrr_C2R_dirReg
		.amdhsa_group_segment_fixed_size 0
		.amdhsa_private_segment_fixed_size 0
		.amdhsa_kernarg_size 104
		.amdhsa_user_sgpr_count 6
		.amdhsa_user_sgpr_private_segment_buffer 1
		.amdhsa_user_sgpr_dispatch_ptr 0
		.amdhsa_user_sgpr_queue_ptr 0
		.amdhsa_user_sgpr_kernarg_segment_ptr 1
		.amdhsa_user_sgpr_dispatch_id 0
		.amdhsa_user_sgpr_flat_scratch_init 0
		.amdhsa_user_sgpr_private_segment_size 0
		.amdhsa_wavefront_size32 1
		.amdhsa_uses_dynamic_stack 0
		.amdhsa_system_sgpr_private_segment_wavefront_offset 0
		.amdhsa_system_sgpr_workgroup_id_x 1
		.amdhsa_system_sgpr_workgroup_id_y 0
		.amdhsa_system_sgpr_workgroup_id_z 0
		.amdhsa_system_sgpr_workgroup_info 0
		.amdhsa_system_vgpr_workitem_id 0
		.amdhsa_next_free_vgpr 91
		.amdhsa_next_free_sgpr 27
		.amdhsa_reserve_vcc 1
		.amdhsa_reserve_flat_scratch 0
		.amdhsa_float_round_mode_32 0
		.amdhsa_float_round_mode_16_64 0
		.amdhsa_float_denorm_mode_32 3
		.amdhsa_float_denorm_mode_16_64 3
		.amdhsa_dx10_clamp 1
		.amdhsa_ieee_mode 1
		.amdhsa_fp16_overflow 0
		.amdhsa_workgroup_processor_mode 1
		.amdhsa_memory_ordered 1
		.amdhsa_forward_progress 0
		.amdhsa_shared_vgpr_count 0
		.amdhsa_exception_fp_ieee_invalid_op 0
		.amdhsa_exception_fp_denorm_src 0
		.amdhsa_exception_fp_ieee_div_zero 0
		.amdhsa_exception_fp_ieee_overflow 0
		.amdhsa_exception_fp_ieee_underflow 0
		.amdhsa_exception_fp_ieee_inexact 0
		.amdhsa_exception_int_div_zero 0
	.end_amdhsa_kernel
	.text
.Lfunc_end0:
	.size	fft_rtc_back_len1950_factors_13_5_10_3_wgs_195_tpt_195_half_op_CI_CI_unitstride_sbrr_C2R_dirReg, .Lfunc_end0-fft_rtc_back_len1950_factors_13_5_10_3_wgs_195_tpt_195_half_op_CI_CI_unitstride_sbrr_C2R_dirReg
                                        ; -- End function
	.section	.AMDGPU.csdata,"",@progbits
; Kernel info:
; codeLenInByte = 10456
; NumSgprs: 29
; NumVgprs: 91
; ScratchSize: 0
; MemoryBound: 0
; FloatMode: 240
; IeeeMode: 1
; LDSByteSize: 0 bytes/workgroup (compile time only)
; SGPRBlocks: 3
; VGPRBlocks: 11
; NumSGPRsForWavesPerEU: 29
; NumVGPRsForWavesPerEU: 91
; Occupancy: 10
; WaveLimiterHint : 1
; COMPUTE_PGM_RSRC2:SCRATCH_EN: 0
; COMPUTE_PGM_RSRC2:USER_SGPR: 6
; COMPUTE_PGM_RSRC2:TRAP_HANDLER: 0
; COMPUTE_PGM_RSRC2:TGID_X_EN: 1
; COMPUTE_PGM_RSRC2:TGID_Y_EN: 0
; COMPUTE_PGM_RSRC2:TGID_Z_EN: 0
; COMPUTE_PGM_RSRC2:TIDIG_COMP_CNT: 0
	.text
	.p2alignl 6, 3214868480
	.fill 48, 4, 3214868480
	.type	__hip_cuid_c7417603a3659ea7,@object ; @__hip_cuid_c7417603a3659ea7
	.section	.bss,"aw",@nobits
	.globl	__hip_cuid_c7417603a3659ea7
__hip_cuid_c7417603a3659ea7:
	.byte	0                               ; 0x0
	.size	__hip_cuid_c7417603a3659ea7, 1

	.ident	"AMD clang version 19.0.0git (https://github.com/RadeonOpenCompute/llvm-project roc-6.4.0 25133 c7fe45cf4b819c5991fe208aaa96edf142730f1d)"
	.section	".note.GNU-stack","",@progbits
	.addrsig
	.addrsig_sym __hip_cuid_c7417603a3659ea7
	.amdgpu_metadata
---
amdhsa.kernels:
  - .args:
      - .actual_access:  read_only
        .address_space:  global
        .offset:         0
        .size:           8
        .value_kind:     global_buffer
      - .offset:         8
        .size:           8
        .value_kind:     by_value
      - .actual_access:  read_only
        .address_space:  global
        .offset:         16
        .size:           8
        .value_kind:     global_buffer
      - .actual_access:  read_only
        .address_space:  global
        .offset:         24
        .size:           8
        .value_kind:     global_buffer
      - .actual_access:  read_only
        .address_space:  global
        .offset:         32
        .size:           8
        .value_kind:     global_buffer
      - .offset:         40
        .size:           8
        .value_kind:     by_value
      - .actual_access:  read_only
        .address_space:  global
        .offset:         48
        .size:           8
        .value_kind:     global_buffer
      - .actual_access:  read_only
        .address_space:  global
        .offset:         56
        .size:           8
        .value_kind:     global_buffer
      - .offset:         64
        .size:           4
        .value_kind:     by_value
      - .actual_access:  read_only
        .address_space:  global
        .offset:         72
        .size:           8
        .value_kind:     global_buffer
      - .actual_access:  read_only
        .address_space:  global
        .offset:         80
        .size:           8
        .value_kind:     global_buffer
      - .actual_access:  read_only
        .address_space:  global
        .offset:         88
        .size:           8
        .value_kind:     global_buffer
      - .actual_access:  write_only
        .address_space:  global
        .offset:         96
        .size:           8
        .value_kind:     global_buffer
    .group_segment_fixed_size: 0
    .kernarg_segment_align: 8
    .kernarg_segment_size: 104
    .language:       OpenCL C
    .language_version:
      - 2
      - 0
    .max_flat_workgroup_size: 195
    .name:           fft_rtc_back_len1950_factors_13_5_10_3_wgs_195_tpt_195_half_op_CI_CI_unitstride_sbrr_C2R_dirReg
    .private_segment_fixed_size: 0
    .sgpr_count:     29
    .sgpr_spill_count: 0
    .symbol:         fft_rtc_back_len1950_factors_13_5_10_3_wgs_195_tpt_195_half_op_CI_CI_unitstride_sbrr_C2R_dirReg.kd
    .uniform_work_group_size: 1
    .uses_dynamic_stack: false
    .vgpr_count:     91
    .vgpr_spill_count: 0
    .wavefront_size: 32
    .workgroup_processor_mode: 1
amdhsa.target:   amdgcn-amd-amdhsa--gfx1030
amdhsa.version:
  - 1
  - 2
...

	.end_amdgpu_metadata
